;; amdgpu-corpus repo=ROCm/rocFFT kind=compiled arch=gfx1030 opt=O3
	.text
	.amdgcn_target "amdgcn-amd-amdhsa--gfx1030"
	.amdhsa_code_object_version 6
	.protected	fft_rtc_fwd_len980_factors_7_5_7_4_wgs_196_tpt_196_half_ip_CI_unitstride_sbrr_R2C_dirReg ; -- Begin function fft_rtc_fwd_len980_factors_7_5_7_4_wgs_196_tpt_196_half_ip_CI_unitstride_sbrr_R2C_dirReg
	.globl	fft_rtc_fwd_len980_factors_7_5_7_4_wgs_196_tpt_196_half_ip_CI_unitstride_sbrr_R2C_dirReg
	.p2align	8
	.type	fft_rtc_fwd_len980_factors_7_5_7_4_wgs_196_tpt_196_half_ip_CI_unitstride_sbrr_R2C_dirReg,@function
fft_rtc_fwd_len980_factors_7_5_7_4_wgs_196_tpt_196_half_ip_CI_unitstride_sbrr_R2C_dirReg: ; @fft_rtc_fwd_len980_factors_7_5_7_4_wgs_196_tpt_196_half_ip_CI_unitstride_sbrr_R2C_dirReg
; %bb.0:
	s_clause 0x2
	s_load_dwordx4 s[8:11], s[4:5], 0x0
	s_load_dwordx2 s[2:3], s[4:5], 0x50
	s_load_dwordx2 s[12:13], s[4:5], 0x18
	v_mul_u32_u24_e32 v1, 0x14f, v0
	v_mov_b32_e32 v3, 0
	v_add_nc_u32_sdwa v5, s6, v1 dst_sel:DWORD dst_unused:UNUSED_PAD src0_sel:DWORD src1_sel:WORD_1
	v_mov_b32_e32 v1, 0
	v_mov_b32_e32 v6, v3
	v_mov_b32_e32 v2, 0
	s_waitcnt lgkmcnt(0)
	v_cmp_lt_u64_e64 s0, s[10:11], 2
	s_and_b32 vcc_lo, exec_lo, s0
	s_cbranch_vccnz .LBB0_8
; %bb.1:
	s_load_dwordx2 s[0:1], s[4:5], 0x10
	v_mov_b32_e32 v1, 0
	s_add_u32 s6, s12, 8
	v_mov_b32_e32 v2, 0
	s_addc_u32 s7, s13, 0
	s_mov_b64 s[16:17], 1
	s_waitcnt lgkmcnt(0)
	s_add_u32 s14, s0, 8
	s_addc_u32 s15, s1, 0
.LBB0_2:                                ; =>This Inner Loop Header: Depth=1
	s_load_dwordx2 s[18:19], s[14:15], 0x0
                                        ; implicit-def: $vgpr7_vgpr8
	s_mov_b32 s0, exec_lo
	s_waitcnt lgkmcnt(0)
	v_or_b32_e32 v4, s19, v6
	v_cmpx_ne_u64_e32 0, v[3:4]
	s_xor_b32 s1, exec_lo, s0
	s_cbranch_execz .LBB0_4
; %bb.3:                                ;   in Loop: Header=BB0_2 Depth=1
	v_cvt_f32_u32_e32 v4, s18
	v_cvt_f32_u32_e32 v7, s19
	s_sub_u32 s0, 0, s18
	s_subb_u32 s20, 0, s19
	v_fmac_f32_e32 v4, 0x4f800000, v7
	v_rcp_f32_e32 v4, v4
	v_mul_f32_e32 v4, 0x5f7ffffc, v4
	v_mul_f32_e32 v7, 0x2f800000, v4
	v_trunc_f32_e32 v7, v7
	v_fmac_f32_e32 v4, 0xcf800000, v7
	v_cvt_u32_f32_e32 v7, v7
	v_cvt_u32_f32_e32 v4, v4
	v_mul_lo_u32 v8, s0, v7
	v_mul_hi_u32 v9, s0, v4
	v_mul_lo_u32 v10, s20, v4
	v_add_nc_u32_e32 v8, v9, v8
	v_mul_lo_u32 v9, s0, v4
	v_add_nc_u32_e32 v8, v8, v10
	v_mul_hi_u32 v10, v4, v9
	v_mul_lo_u32 v11, v4, v8
	v_mul_hi_u32 v12, v4, v8
	v_mul_hi_u32 v13, v7, v9
	v_mul_lo_u32 v9, v7, v9
	v_mul_hi_u32 v14, v7, v8
	v_mul_lo_u32 v8, v7, v8
	v_add_co_u32 v10, vcc_lo, v10, v11
	v_add_co_ci_u32_e32 v11, vcc_lo, 0, v12, vcc_lo
	v_add_co_u32 v9, vcc_lo, v10, v9
	v_add_co_ci_u32_e32 v9, vcc_lo, v11, v13, vcc_lo
	v_add_co_ci_u32_e32 v10, vcc_lo, 0, v14, vcc_lo
	v_add_co_u32 v8, vcc_lo, v9, v8
	v_add_co_ci_u32_e32 v9, vcc_lo, 0, v10, vcc_lo
	v_add_co_u32 v4, vcc_lo, v4, v8
	v_add_co_ci_u32_e32 v7, vcc_lo, v7, v9, vcc_lo
	v_mul_hi_u32 v8, s0, v4
	v_mul_lo_u32 v10, s20, v4
	v_mul_lo_u32 v9, s0, v7
	v_add_nc_u32_e32 v8, v8, v9
	v_mul_lo_u32 v9, s0, v4
	v_add_nc_u32_e32 v8, v8, v10
	v_mul_hi_u32 v10, v4, v9
	v_mul_lo_u32 v11, v4, v8
	v_mul_hi_u32 v12, v4, v8
	v_mul_hi_u32 v13, v7, v9
	v_mul_lo_u32 v9, v7, v9
	v_mul_hi_u32 v14, v7, v8
	v_mul_lo_u32 v8, v7, v8
	v_add_co_u32 v10, vcc_lo, v10, v11
	v_add_co_ci_u32_e32 v11, vcc_lo, 0, v12, vcc_lo
	v_add_co_u32 v9, vcc_lo, v10, v9
	v_add_co_ci_u32_e32 v9, vcc_lo, v11, v13, vcc_lo
	v_add_co_ci_u32_e32 v10, vcc_lo, 0, v14, vcc_lo
	v_add_co_u32 v8, vcc_lo, v9, v8
	v_add_co_ci_u32_e32 v9, vcc_lo, 0, v10, vcc_lo
	v_add_co_u32 v4, vcc_lo, v4, v8
	v_add_co_ci_u32_e32 v11, vcc_lo, v7, v9, vcc_lo
	v_mul_hi_u32 v13, v5, v4
	v_mad_u64_u32 v[9:10], null, v6, v4, 0
	v_mad_u64_u32 v[7:8], null, v5, v11, 0
	;; [unrolled: 1-line block ×3, first 2 shown]
	v_add_co_u32 v4, vcc_lo, v13, v7
	v_add_co_ci_u32_e32 v7, vcc_lo, 0, v8, vcc_lo
	v_add_co_u32 v4, vcc_lo, v4, v9
	v_add_co_ci_u32_e32 v4, vcc_lo, v7, v10, vcc_lo
	v_add_co_ci_u32_e32 v7, vcc_lo, 0, v12, vcc_lo
	v_add_co_u32 v4, vcc_lo, v4, v11
	v_add_co_ci_u32_e32 v9, vcc_lo, 0, v7, vcc_lo
	v_mul_lo_u32 v10, s19, v4
	v_mad_u64_u32 v[7:8], null, s18, v4, 0
	v_mul_lo_u32 v11, s18, v9
	v_sub_co_u32 v7, vcc_lo, v5, v7
	v_add3_u32 v8, v8, v11, v10
	v_sub_nc_u32_e32 v10, v6, v8
	v_subrev_co_ci_u32_e64 v10, s0, s19, v10, vcc_lo
	v_add_co_u32 v11, s0, v4, 2
	v_add_co_ci_u32_e64 v12, s0, 0, v9, s0
	v_sub_co_u32 v13, s0, v7, s18
	v_sub_co_ci_u32_e32 v8, vcc_lo, v6, v8, vcc_lo
	v_subrev_co_ci_u32_e64 v10, s0, 0, v10, s0
	v_cmp_le_u32_e32 vcc_lo, s18, v13
	v_cmp_eq_u32_e64 s0, s19, v8
	v_cndmask_b32_e64 v13, 0, -1, vcc_lo
	v_cmp_le_u32_e32 vcc_lo, s19, v10
	v_cndmask_b32_e64 v14, 0, -1, vcc_lo
	v_cmp_le_u32_e32 vcc_lo, s18, v7
	;; [unrolled: 2-line block ×3, first 2 shown]
	v_cndmask_b32_e64 v15, 0, -1, vcc_lo
	v_cmp_eq_u32_e32 vcc_lo, s19, v10
	v_cndmask_b32_e64 v7, v15, v7, s0
	v_cndmask_b32_e32 v10, v14, v13, vcc_lo
	v_add_co_u32 v13, vcc_lo, v4, 1
	v_add_co_ci_u32_e32 v14, vcc_lo, 0, v9, vcc_lo
	v_cmp_ne_u32_e32 vcc_lo, 0, v10
	v_cndmask_b32_e32 v8, v14, v12, vcc_lo
	v_cndmask_b32_e32 v10, v13, v11, vcc_lo
	v_cmp_ne_u32_e32 vcc_lo, 0, v7
	v_cndmask_b32_e32 v8, v9, v8, vcc_lo
	v_cndmask_b32_e32 v7, v4, v10, vcc_lo
.LBB0_4:                                ;   in Loop: Header=BB0_2 Depth=1
	s_andn2_saveexec_b32 s0, s1
	s_cbranch_execz .LBB0_6
; %bb.5:                                ;   in Loop: Header=BB0_2 Depth=1
	v_cvt_f32_u32_e32 v4, s18
	s_sub_i32 s1, 0, s18
	v_rcp_iflag_f32_e32 v4, v4
	v_mul_f32_e32 v4, 0x4f7ffffe, v4
	v_cvt_u32_f32_e32 v4, v4
	v_mul_lo_u32 v7, s1, v4
	v_mul_hi_u32 v7, v4, v7
	v_add_nc_u32_e32 v4, v4, v7
	v_mul_hi_u32 v4, v5, v4
	v_mul_lo_u32 v7, v4, s18
	v_add_nc_u32_e32 v8, 1, v4
	v_sub_nc_u32_e32 v7, v5, v7
	v_subrev_nc_u32_e32 v9, s18, v7
	v_cmp_le_u32_e32 vcc_lo, s18, v7
	v_cndmask_b32_e32 v7, v7, v9, vcc_lo
	v_cndmask_b32_e32 v4, v4, v8, vcc_lo
	v_cmp_le_u32_e32 vcc_lo, s18, v7
	v_add_nc_u32_e32 v8, 1, v4
	v_cndmask_b32_e32 v7, v4, v8, vcc_lo
	v_mov_b32_e32 v8, v3
.LBB0_6:                                ;   in Loop: Header=BB0_2 Depth=1
	s_or_b32 exec_lo, exec_lo, s0
	s_load_dwordx2 s[0:1], s[6:7], 0x0
	v_mul_lo_u32 v4, v8, s18
	v_mul_lo_u32 v11, v7, s19
	v_mad_u64_u32 v[9:10], null, v7, s18, 0
	s_add_u32 s16, s16, 1
	s_addc_u32 s17, s17, 0
	s_add_u32 s6, s6, 8
	s_addc_u32 s7, s7, 0
	;; [unrolled: 2-line block ×3, first 2 shown]
	v_add3_u32 v4, v10, v11, v4
	v_sub_co_u32 v5, vcc_lo, v5, v9
	v_sub_co_ci_u32_e32 v4, vcc_lo, v6, v4, vcc_lo
	s_waitcnt lgkmcnt(0)
	v_mul_lo_u32 v6, s1, v5
	v_mul_lo_u32 v4, s0, v4
	v_mad_u64_u32 v[1:2], null, s0, v5, v[1:2]
	v_cmp_ge_u64_e64 s0, s[16:17], s[10:11]
	s_and_b32 vcc_lo, exec_lo, s0
	v_add3_u32 v2, v6, v2, v4
	s_cbranch_vccnz .LBB0_9
; %bb.7:                                ;   in Loop: Header=BB0_2 Depth=1
	v_mov_b32_e32 v5, v7
	v_mov_b32_e32 v6, v8
	s_branch .LBB0_2
.LBB0_8:
	v_mov_b32_e32 v8, v6
	v_mov_b32_e32 v7, v5
.LBB0_9:
	s_lshl_b64 s[0:1], s[10:11], 3
	v_mul_hi_u32 v3, 0x14e5e0b, v0
	s_add_u32 s0, s12, s0
	s_addc_u32 s1, s13, s1
	s_load_dwordx2 s[0:1], s[0:1], 0x0
	s_load_dwordx2 s[4:5], s[4:5], 0x20
	v_mul_u32_u24_e32 v3, 0xc4, v3
	v_sub_nc_u32_e32 v0, v0, v3
	v_lshl_add_u32 v12, v0, 2, 0
	s_waitcnt lgkmcnt(0)
	v_mul_lo_u32 v4, s0, v8
	v_mul_lo_u32 v5, s1, v7
	v_mad_u64_u32 v[1:2], null, s0, v7, v[1:2]
	v_cmp_gt_u64_e32 vcc_lo, s[4:5], v[7:8]
	v_add3_u32 v2, v5, v2, v4
	v_lshlrev_b64 v[2:3], 2, v[1:2]
	s_and_saveexec_b32 s1, vcc_lo
	s_cbranch_execz .LBB0_11
; %bb.10:
	v_mov_b32_e32 v1, 0
	v_lshlrev_b64 v[4:5], 2, v[0:1]
	v_add_co_u32 v1, s0, s2, v2
	v_add_co_ci_u32_e64 v6, s0, s3, v3, s0
	v_add_co_u32 v4, s0, v1, v4
	v_add_co_ci_u32_e64 v5, s0, v6, v5, s0
	;; [unrolled: 2-line block ×3, first 2 shown]
	s_clause 0x4
	global_load_dword v1, v[4:5], off
	global_load_dword v8, v[4:5], off offset:784
	global_load_dword v4, v[4:5], off offset:1568
	;; [unrolled: 1-line block ×4, first 2 shown]
	v_add_nc_u32_e32 v7, 0x600, v12
	s_waitcnt vmcnt(3)
	ds_write2_b32 v12, v1, v8 offset1:196
	s_waitcnt vmcnt(1)
	ds_write2_b32 v7, v4, v5 offset0:8 offset1:204
	s_waitcnt vmcnt(0)
	ds_write_b32 v12, v6 offset:3136
.LBB0_11:
	s_or_b32 exec_lo, exec_lo, s1
	v_add_nc_u32_e32 v1, 0x400, v12
	v_add_nc_u32_e32 v8, 0x800, v12
	s_waitcnt lgkmcnt(0)
	s_barrier
	buffer_gl0_inv
	ds_read2_b32 v[4:5], v12 offset1:140
	ds_read2_b32 v[6:7], v1 offset0:24 offset1:164
	ds_read_b32 v1, v12 offset:3360
	ds_read2_b32 v[8:9], v8 offset0:48 offset1:188
	v_cmp_gt_u32_e64 s0, 0x8c, v0
	s_waitcnt lgkmcnt(0)
	s_barrier
	buffer_gl0_inv
	v_pk_add_f16 v10, v5, v1
	v_pk_add_f16 v11, v6, v9
	;; [unrolled: 1-line block ×3, first 2 shown]
	v_pk_add_f16 v6, v6, v9 neg_lo:[0,1] neg_hi:[0,1]
	v_pk_add_f16 v7, v8, v7 neg_lo:[0,1] neg_hi:[0,1]
	;; [unrolled: 1-line block ×3, first 2 shown]
	v_pk_add_f16 v5, v11, v10
	v_pk_add_f16 v8, v11, v10 neg_lo:[0,1] neg_hi:[0,1]
	v_pk_add_f16 v9, v10, v13 neg_lo:[0,1] neg_hi:[0,1]
	;; [unrolled: 1-line block ×5, first 2 shown]
	v_pk_add_f16 v11, v13, v5
	v_pk_add_f16 v14, v7, v6
	v_pk_add_f16 v13, v7, v6 neg_lo:[0,1] neg_hi:[0,1]
	v_pk_mul_f16 v6, 0x3a52, v9 op_sel_hi:[0,1]
	v_pk_mul_f16 v5, 0x39e0, v8 op_sel_hi:[0,1]
	;; [unrolled: 1-line block ×3, first 2 shown]
	v_pk_add_f16 v4, v4, v11
	v_pk_mul_f16 v7, 0x3574, v15 op_sel_hi:[0,1]
	v_pk_add_f16 v14, v14, v1
	v_pk_add_f16 v1, v6, v5 op_sel:[1,1] op_sel_hi:[0,0] neg_lo:[1,1] neg_hi:[1,1]
	v_pk_fma_f16 v15, 0x3574, v15, v8 op_sel_hi:[0,1,1] neg_lo:[0,1,1] neg_hi:[0,1,1]
	v_pk_fma_f16 v9, 0xbcab, v11, v4 op_sel_hi:[0,1,1]
	v_pk_fma_f16 v7, 0xb846, v13, v7 op_sel_hi:[0,1,1]
	;; [unrolled: 1-line block ×4, first 2 shown]
	v_pk_add_f16 v1, v1, v9 op_sel:[0,1] op_sel_hi:[1,0]
	v_pk_fma_f16 v7, 0x370e, v14, v7 op_sel_hi:[0,1,1]
	v_pk_add_f16 v15, v6, v9
	v_pk_add_f16 v6, v1, v11 neg_lo:[0,1] neg_hi:[0,1]
	v_pk_add_f16 v11, v1, v11
	v_pk_add_f16 v1, v15, v7 op_sel:[0,1] op_sel_hi:[1,0] neg_lo:[0,1] neg_hi:[0,1]
	v_pk_add_f16 v7, v15, v7 op_sel:[0,1] op_sel_hi:[1,0]
	s_and_saveexec_b32 s1, s0
	s_cbranch_execz .LBB0_13
; %bb.12:
	v_pk_mul_f16 v13, 0xb846, v13 op_sel_hi:[0,1]
	v_pk_mul_f16 v10, 0x2b26, v10 op_sel_hi:[0,1]
	;; [unrolled: 1-line block ×3, first 2 shown]
	v_pk_add_f16 v8, v8, v13 neg_lo:[0,1] neg_hi:[0,1]
	v_pk_add_f16 v5, v5, v10 neg_lo:[0,1] neg_hi:[0,1]
	v_bfi_b32 v10, 0xffff, v7, v1
	v_alignbit_b32 v13, v6, v11, 16
	v_pk_add_f16 v8, v14, v8
	v_pk_add_f16 v5, v5, v9
	v_alignbit_b32 v14, v11, v6, 16
	v_pk_add_f16 v9, v5, v8 op_sel:[0,1] op_sel_hi:[1,0] neg_lo:[0,1] neg_hi:[0,1]
	v_pk_add_f16 v5, v5, v8 op_sel:[0,1] op_sel_hi:[1,0]
	v_mad_u32_u24 v8, v0, 24, v12
	v_bfi_b32 v15, 0xffff, v9, v5
	v_bfi_b32 v5, 0xffff, v5, v9
	;; [unrolled: 1-line block ×3, first 2 shown]
	ds_write2_b32 v8, v4, v10 offset1:1
	ds_write2_b32 v8, v13, v15 offset0:2 offset1:3
	ds_write2_b32 v8, v5, v14 offset0:4 offset1:5
	ds_write_b32 v8, v9 offset:24
.LBB0_13:
	s_or_b32 exec_lo, exec_lo, s1
	v_and_b32_e32 v13, 0xff, v0
	s_waitcnt lgkmcnt(0)
	s_barrier
	buffer_gl0_inv
	v_add_nc_u32_e32 v8, 0x600, v12
	v_mul_lo_u16 v4, v13, 37
	v_mov_b32_e32 v22, 0x8c
	v_mov_b32_e32 v23, 2
	v_lshrrev_b32_e32 v15, 16, v7
	v_lshrrev_b32_e32 v6, 16, v6
	v_lshrrev_b16 v4, 8, v4
	v_sub_nc_u16 v5, v0, v4
	v_lshrrev_b16 v5, 1, v5
	v_and_b32_e32 v5, 0x7f, v5
	v_add_nc_u16 v4, v5, v4
	v_mov_b32_e32 v5, 4
	v_lshrrev_b16 v10, 2, v4
	v_mul_lo_u16 v4, v10, 7
	v_mul_u32_u24_sdwa v10, v10, v22 dst_sel:DWORD dst_unused:UNUSED_PAD src0_sel:WORD_0 src1_sel:DWORD
	v_sub_nc_u16 v20, v0, v4
	v_lshlrev_b32_sdwa v4, v5, v20 dst_sel:DWORD dst_unused:UNUSED_PAD src0_sel:DWORD src1_sel:BYTE_0
	v_lshlrev_b32_sdwa v20, v23, v20 dst_sel:DWORD dst_unused:UNUSED_PAD src0_sel:DWORD src1_sel:BYTE_0
	global_load_dwordx4 v[16:19], v4, s[8:9]
	ds_read2_b32 v[4:5], v12 offset1:196
	ds_read_b32 v21, v12 offset:3136
	ds_read2_b32 v[8:9], v8 offset0:8 offset1:204
	ds_read_u16 v14, v12 offset:2
	v_add3_u32 v10, 0, v10, v20
	s_waitcnt vmcnt(0) lgkmcnt(0)
	s_barrier
	buffer_gl0_inv
	v_lshrrev_b32_e32 v7, 16, v5
	v_lshrrev_b32_e32 v22, 16, v21
	;; [unrolled: 1-line block ×4, first 2 shown]
	v_mul_f16_sdwa v20, v16, v7 dst_sel:DWORD dst_unused:UNUSED_PAD src0_sel:WORD_1 src1_sel:DWORD
	v_mul_f16_sdwa v25, v16, v5 dst_sel:DWORD dst_unused:UNUSED_PAD src0_sel:WORD_1 src1_sel:DWORD
	;; [unrolled: 1-line block ×8, first 2 shown]
	v_fma_f16 v5, v16, v5, -v20
	v_fmac_f16_e32 v25, v16, v7
	v_fma_f16 v7, v17, v8, -v26
	v_fmac_f16_e32 v27, v17, v23
	;; [unrolled: 2-line block ×4, first 2 shown]
	v_add_f16_e32 v9, v5, v4
	v_add_f16_e32 v17, v7, v8
	v_sub_f16_e32 v18, v5, v7
	v_sub_f16_e32 v19, v16, v8
	v_add_f16_e32 v26, v14, v25
	v_add_f16_e32 v28, v27, v29
	;; [unrolled: 1-line block ×4, first 2 shown]
	v_sub_f16_e32 v21, v25, v31
	v_sub_f16_e32 v23, v7, v5
	;; [unrolled: 1-line block ×4, first 2 shown]
	v_add_f16_e32 v7, v9, v7
	v_fma_f16 v5, -0.5, v17, v4
	v_add_f16_e32 v17, v18, v19
	v_add_f16_e32 v19, v26, v27
	v_fma_f16 v18, -0.5, v28, v14
	v_sub_f16_e32 v22, v27, v29
	v_fmac_f16_e32 v4, -0.5, v20
	v_fmac_f16_e32 v14, -0.5, v35
	v_sub_f16_e32 v24, v8, v16
	v_sub_f16_e32 v33, v25, v27
	;; [unrolled: 1-line block ×3, first 2 shown]
	v_add_f16_e32 v7, v7, v8
	v_fmamk_f16 v8, v21, 0x3b9c, v5
	v_add_f16_e32 v26, v19, v29
	v_fmamk_f16 v19, v30, 0xbb9c, v18
	v_sub_f16_e32 v25, v27, v25
	v_sub_f16_e32 v36, v29, v31
	v_fmamk_f16 v9, v22, 0xbb9c, v4
	v_fmac_f16_e32 v4, 0x3b9c, v22
	v_fmamk_f16 v20, v32, 0x3b9c, v14
	v_fmac_f16_e32 v14, 0xbb9c, v32
	v_fmac_f16_e32 v5, 0xbb9c, v21
	;; [unrolled: 1-line block ×3, first 2 shown]
	v_add_f16_e32 v23, v23, v24
	v_add_f16_e32 v24, v33, v34
	v_fmac_f16_e32 v8, 0x38b4, v22
	v_fmac_f16_e32 v19, 0xb8b4, v32
	v_add_f16_e32 v25, v25, v36
	v_fmac_f16_e32 v9, 0x38b4, v21
	v_fmac_f16_e32 v4, 0xb8b4, v21
	;; [unrolled: 1-line block ×6, first 2 shown]
	v_add_f16_e32 v7, v7, v16
	v_add_f16_e32 v16, v26, v31
	v_fmac_f16_e32 v8, 0x34f2, v17
	v_fmac_f16_e32 v19, 0x34f2, v24
	;; [unrolled: 1-line block ×8, first 2 shown]
	v_pack_b32_f16 v17, v7, v16
	v_pack_b32_f16 v21, v8, v19
	;; [unrolled: 1-line block ×5, first 2 shown]
	ds_write2_b32 v10, v17, v21 offset1:7
	ds_write2_b32 v10, v22, v23 offset0:14 offset1:21
	ds_write_b32 v10, v24 offset:112
	s_waitcnt lgkmcnt(0)
	s_barrier
	buffer_gl0_inv
	s_and_saveexec_b32 s1, s0
	s_cbranch_execz .LBB0_15
; %bb.14:
	v_add_nc_u32_e32 v4, 0x400, v12
	v_add_nc_u32_e32 v5, 0x800, v12
	ds_read2_b32 v[7:8], v12 offset1:140
	ds_read_b32 v1, v12 offset:3360
	ds_read2_b32 v[9:10], v4 offset0:24 offset1:164
	ds_read2_b32 v[5:6], v5 offset0:48 offset1:188
	s_waitcnt lgkmcnt(3)
	v_lshrrev_b32_e32 v16, 16, v7
	v_lshrrev_b32_e32 v19, 16, v8
	s_waitcnt lgkmcnt(2)
	v_lshrrev_b32_e32 v15, 16, v1
	s_waitcnt lgkmcnt(1)
	v_lshrrev_b32_e32 v20, 16, v9
	v_lshrrev_b32_e32 v14, 16, v10
	s_waitcnt lgkmcnt(0)
	v_lshrrev_b32_e32 v18, 16, v5
	v_lshrrev_b32_e32 v11, 16, v6
	v_mov_b32_e32 v4, v10
.LBB0_15:
	s_or_b32 exec_lo, exec_lo, s1
	v_mul_lo_u16 v10, 0xeb, v13
	v_mov_b32_e32 v21, 6
	v_lshrrev_b16 v10, 13, v10
	v_mul_lo_u16 v13, v10, 35
	v_sub_nc_u16 v17, v0, v13
	v_mul_u32_u24_sdwa v13, v17, v21 dst_sel:DWORD dst_unused:UNUSED_PAD src0_sel:BYTE_0 src1_sel:DWORD
	v_lshlrev_b32_e32 v13, 2, v13
	s_clause 0x1
	global_load_dwordx4 v[21:24], v13, s[8:9] offset:112
	global_load_dwordx2 v[25:26], v13, s[8:9] offset:128
	s_waitcnt vmcnt(0)
	s_barrier
	buffer_gl0_inv
	v_mul_f16_sdwa v13, v19, v21 dst_sel:DWORD dst_unused:UNUSED_PAD src0_sel:DWORD src1_sel:WORD_1
	v_mul_f16_sdwa v27, v8, v21 dst_sel:DWORD dst_unused:UNUSED_PAD src0_sel:DWORD src1_sel:WORD_1
	;; [unrolled: 1-line block ×12, first 2 shown]
	v_fma_f16 v8, v8, v21, -v13
	v_fmac_f16_e32 v27, v19, v21
	v_fma_f16 v9, v9, v22, -v28
	v_fmac_f16_e32 v29, v20, v22
	;; [unrolled: 2-line block ×6, first 2 shown]
	v_add_f16_e32 v11, v8, v1
	v_add_f16_e32 v13, v27, v37
	;; [unrolled: 1-line block ×4, first 2 shown]
	v_sub_f16_e32 v1, v8, v1
	v_sub_f16_e32 v8, v27, v37
	;; [unrolled: 1-line block ×4, first 2 shown]
	v_add_f16_e32 v18, v4, v5
	v_add_f16_e32 v19, v31, v33
	v_sub_f16_e32 v4, v5, v4
	v_sub_f16_e32 v5, v33, v31
	v_add_f16_e32 v20, v14, v11
	v_add_f16_e32 v21, v15, v13
	v_sub_f16_e32 v22, v14, v11
	v_sub_f16_e32 v23, v15, v13
	;; [unrolled: 1-line block ×6, first 2 shown]
	v_add_f16_e32 v24, v4, v6
	v_add_f16_e32 v25, v5, v9
	v_sub_f16_e32 v26, v4, v6
	v_sub_f16_e32 v27, v5, v9
	;; [unrolled: 1-line block ×4, first 2 shown]
	v_add_f16_e32 v20, v18, v20
	v_add_f16_e32 v21, v19, v21
	v_sub_f16_e32 v4, v1, v4
	v_sub_f16_e32 v5, v8, v5
	v_add_f16_e32 v1, v24, v1
	v_add_f16_e32 v24, v25, v8
	v_mul_f16_e32 v9, 0x3a52, v11
	v_mul_f16_e32 v11, 0x3a52, v13
	;; [unrolled: 1-line block ×8, first 2 shown]
	v_add_f16_e32 v7, v7, v20
	v_add_f16_e32 v8, v16, v21
	v_fmamk_f16 v14, v14, 0x2b26, v9
	v_fmamk_f16 v29, v15, 0x2b26, v11
	v_fma_f16 v13, v22, 0x39e0, -v13
	v_fma_f16 v30, v23, 0x39e0, -v18
	;; [unrolled: 1-line block ×4, first 2 shown]
	v_fmamk_f16 v9, v4, 0x3574, v19
	v_fmamk_f16 v11, v5, 0x3574, v25
	v_fma_f16 v18, v6, 0x3b00, -v19
	v_fma_f16 v15, v28, 0x3b00, -v25
	;; [unrolled: 1-line block ×4, first 2 shown]
	v_fmamk_f16 v4, v20, 0xbcab, v7
	v_fmamk_f16 v5, v21, 0xbcab, v8
	v_fmac_f16_e32 v9, 0x370e, v1
	v_fmac_f16_e32 v11, 0x370e, v24
	;; [unrolled: 1-line block ×6, first 2 shown]
	v_add_f16_e32 v21, v14, v4
	v_add_f16_e32 v20, v13, v4
	;; [unrolled: 1-line block ×7, first 2 shown]
	v_sub_f16_e32 v1, v24, v18
	v_sub_f16_e32 v5, v22, v16
	v_add_f16_e32 v13, v19, v25
	v_sub_f16_e32 v6, v21, v11
	v_add_f16_e32 v14, v9, v23
	s_and_saveexec_b32 s1, s0
	s_cbranch_execz .LBB0_17
; %bb.16:
	v_mov_b32_e32 v26, 0x3d4
	v_mov_b32_e32 v27, 2
	v_sub_f16_e32 v9, v23, v9
	v_add_f16_e32 v11, v11, v21
	v_add_f16_e32 v18, v18, v24
	v_mul_u32_u24_sdwa v10, v10, v26 dst_sel:DWORD dst_unused:UNUSED_PAD src0_sel:WORD_0 src1_sel:DWORD
	v_lshlrev_b32_sdwa v17, v27, v17 dst_sel:DWORD dst_unused:UNUSED_PAD src0_sel:DWORD src1_sel:BYTE_0
	v_sub_f16_e32 v19, v25, v19
	v_add_f16_e32 v16, v16, v22
	v_sub_f16_e32 v15, v20, v15
	v_perm_b32 v7, v8, v7, 0x5040100
	v_add3_u32 v10, 0, v10, v17
	v_pack_b32_f16 v8, v11, v9
	v_pack_b32_f16 v9, v16, v19
	;; [unrolled: 1-line block ×3, first 2 shown]
	v_perm_b32 v15, v1, v4, 0x5040100
	v_perm_b32 v16, v13, v5, 0x5040100
	;; [unrolled: 1-line block ×3, first 2 shown]
	ds_write2_b32 v10, v7, v8 offset1:35
	ds_write2_b32 v10, v9, v11 offset0:70 offset1:105
	ds_write2_b32 v10, v15, v16 offset0:140 offset1:175
	ds_write_b32 v10, v17 offset:840
.LBB0_17:
	s_or_b32 exec_lo, exec_lo, s1
	v_add_nc_u32_e32 v16, 0x780, v12
	s_waitcnt lgkmcnt(0)
	s_barrier
	buffer_gl0_inv
	ds_read2_b32 v[8:9], v12 offset1:245
	ds_read2_b32 v[10:11], v16 offset0:10 offset1:255
	v_cmp_gt_u32_e64 s0, 49, v0
                                        ; implicit-def: $vgpr15
	s_and_saveexec_b32 s1, s0
	s_cbranch_execz .LBB0_19
; %bb.18:
	v_add_nc_u32_e32 v1, 0x300, v12
	v_add_nc_u32_e32 v6, 0xaa0, v12
	ds_read2_b32 v[4:5], v1 offset0:4 offset1:249
	ds_read2_b32 v[6:7], v6 offset0:6 offset1:251
	s_waitcnt lgkmcnt(1)
	v_lshrrev_b32_e32 v1, 16, v4
	v_lshrrev_b32_e32 v13, 16, v5
	s_waitcnt lgkmcnt(0)
	v_lshrrev_b32_e32 v14, 16, v6
	v_lshrrev_b32_e32 v15, 16, v7
.LBB0_19:
	s_or_b32 exec_lo, exec_lo, s1
	v_mul_u32_u24_e32 v17, 3, v0
	s_waitcnt lgkmcnt(1)
	v_lshrrev_b32_e32 v20, 16, v9
	s_waitcnt lgkmcnt(0)
	v_lshrrev_b32_e32 v21, 16, v10
	v_lshrrev_b32_e32 v23, 16, v11
	;; [unrolled: 1-line block ×3, first 2 shown]
	v_lshlrev_b32_e32 v17, 2, v17
	global_load_dwordx3 v[17:19], v17, s[8:9] offset:952
	s_waitcnt vmcnt(0)
	s_barrier
	buffer_gl0_inv
	v_mul_f16_sdwa v24, v17, v20 dst_sel:DWORD dst_unused:UNUSED_PAD src0_sel:WORD_1 src1_sel:DWORD
	v_mul_f16_sdwa v25, v17, v9 dst_sel:DWORD dst_unused:UNUSED_PAD src0_sel:WORD_1 src1_sel:DWORD
	;; [unrolled: 1-line block ×6, first 2 shown]
	v_fma_f16 v9, v17, v9, -v24
	v_fmac_f16_e32 v25, v17, v20
	v_fma_f16 v10, v18, v10, -v26
	v_fmac_f16_e32 v27, v18, v21
	;; [unrolled: 2-line block ×3, first 2 shown]
	v_sub_f16_e32 v10, v8, v10
	v_sub_f16_e32 v17, v22, v27
	;; [unrolled: 1-line block ×4, first 2 shown]
	v_fma_f16 v8, v8, 2.0, -v10
	v_fma_f16 v19, v22, 2.0, -v17
	;; [unrolled: 1-line block ×4, first 2 shown]
	v_sub_f16_e32 v18, v10, v18
	v_add_f16_e32 v11, v17, v11
	v_sub_f16_e32 v9, v8, v9
	v_sub_f16_e32 v20, v19, v20
	v_fma_f16 v10, v10, 2.0, -v18
	v_fma_f16 v17, v17, 2.0, -v11
	v_pack_b32_f16 v11, v18, v11
	v_fma_f16 v8, v8, 2.0, -v9
	v_fma_f16 v19, v19, 2.0, -v20
	v_pack_b32_f16 v9, v9, v20
	v_pack_b32_f16 v10, v10, v17
	;; [unrolled: 1-line block ×3, first 2 shown]
	ds_write2_b32 v12, v8, v10 offset1:245
	ds_write2_b32 v16, v9, v11 offset0:10 offset1:255
	s_and_saveexec_b32 s1, s0
	s_cbranch_execz .LBB0_21
; %bb.20:
	v_add_nc_u32_e32 v8, 0xc4, v0
	v_subrev_nc_u32_e32 v9, 49, v0
	v_cndmask_b32_e64 v8, v9, v8, s0
	v_mov_b32_e32 v9, 0
	v_mul_i32_i24_e32 v8, 3, v8
	v_lshlrev_b64 v[8:9], 2, v[8:9]
	v_add_co_u32 v8, s0, s8, v8
	v_add_co_ci_u32_e64 v9, s0, s9, v9, s0
	global_load_dwordx3 v[8:10], v[8:9], off offset:952
	s_waitcnt vmcnt(0)
	v_mul_f16_sdwa v11, v14, v9 dst_sel:DWORD dst_unused:UNUSED_PAD src0_sel:DWORD src1_sel:WORD_1
	v_mul_f16_sdwa v16, v5, v8 dst_sel:DWORD dst_unused:UNUSED_PAD src0_sel:DWORD src1_sel:WORD_1
	;; [unrolled: 1-line block ×6, first 2 shown]
	v_fma_f16 v6, v6, v9, -v11
	v_fmac_f16_e32 v16, v13, v8
	v_fma_f16 v5, v5, v8, -v18
	v_fma_f16 v7, v7, v10, -v19
	v_fmac_f16_e32 v20, v14, v9
	v_fmac_f16_e32 v17, v15, v10
	v_sub_f16_e32 v6, v4, v6
	v_add_nc_u32_e32 v11, 0x300, v12
	v_sub_f16_e32 v7, v5, v7
	v_sub_f16_e32 v8, v1, v20
	;; [unrolled: 1-line block ×3, first 2 shown]
	v_fma_f16 v4, v4, 2.0, -v6
	v_add_nc_u32_e32 v13, 0xaa0, v12
	v_fma_f16 v5, v5, 2.0, -v7
	v_fma_f16 v1, v1, 2.0, -v8
	;; [unrolled: 1-line block ×3, first 2 shown]
	v_sub_f16_e32 v9, v6, v9
	v_add_f16_e32 v7, v8, v7
	v_sub_f16_e32 v5, v4, v5
	v_sub_f16_e32 v10, v1, v10
	v_fma_f16 v6, v6, 2.0, -v9
	v_fma_f16 v8, v8, 2.0, -v7
	;; [unrolled: 1-line block ×3, first 2 shown]
	v_pack_b32_f16 v7, v9, v7
	v_fma_f16 v1, v1, 2.0, -v10
	v_pack_b32_f16 v6, v6, v8
	v_pack_b32_f16 v1, v4, v1
	;; [unrolled: 1-line block ×3, first 2 shown]
	ds_write2_b32 v11, v1, v6 offset0:4 offset1:249
	ds_write2_b32 v13, v4, v7 offset0:6 offset1:251
.LBB0_21:
	s_or_b32 exec_lo, exec_lo, s1
	s_waitcnt lgkmcnt(0)
	s_barrier
	buffer_gl0_inv
	ds_read_b32 v6, v12
	v_lshlrev_b32_e32 v1, 2, v0
	s_add_u32 s1, s8, 0xf34
	s_addc_u32 s4, s9, 0
	s_mov_b32 s5, exec_lo
                                        ; implicit-def: $vgpr11
                                        ; implicit-def: $vgpr10
                                        ; implicit-def: $vgpr9
                                        ; implicit-def: $vgpr4_vgpr5
	v_sub_nc_u32_e32 v8, 0, v1
	v_cmpx_ne_u32_e32 0, v0
	s_xor_b32 s5, exec_lo, s5
	s_cbranch_execz .LBB0_23
; %bb.22:
	v_mov_b32_e32 v1, 0
	v_lshlrev_b64 v[4:5], 2, v[0:1]
	v_add_co_u32 v4, s0, s1, v4
	v_add_co_ci_u32_e64 v5, s0, s4, v5, s0
	global_load_dword v4, v[4:5], off
	ds_read_b32 v5, v8 offset:3920
	s_waitcnt lgkmcnt(0)
	v_sub_f16_e32 v7, v6, v5
	v_add_f16_sdwa v9, v5, v6 dst_sel:DWORD dst_unused:UNUSED_PAD src0_sel:WORD_1 src1_sel:WORD_1
	v_sub_f16_sdwa v10, v6, v5 dst_sel:DWORD dst_unused:UNUSED_PAD src0_sel:WORD_1 src1_sel:WORD_1
	v_add_f16_e32 v5, v5, v6
	v_mul_f16_e32 v7, 0.5, v7
	v_mul_f16_e32 v6, 0.5, v9
	;; [unrolled: 1-line block ×3, first 2 shown]
	s_waitcnt vmcnt(0)
	v_lshrrev_b32_e32 v11, 16, v4
	v_mul_f16_e32 v10, v11, v7
	v_fma_f16 v13, v6, v11, v9
	v_fma_f16 v11, v6, v11, -v9
	v_fma_f16 v14, 0.5, v5, v10
	v_fma_f16 v5, v5, 0.5, -v10
	v_fma_f16 v9, -v4, v7, v13
	v_fma_f16 v11, -v4, v7, v11
	v_fmac_f16_e32 v14, v4, v6
	v_fma_f16 v10, -v4, v6, v5
	v_mov_b32_e32 v5, v1
	v_mov_b32_e32 v4, v0
                                        ; implicit-def: $vgpr6
	ds_write_b16 v12, v14
.LBB0_23:
	s_andn2_saveexec_b32 s0, s5
	s_cbranch_execz .LBB0_25
; %bb.24:
	v_mov_b32_e32 v9, 0
	v_mov_b32_e32 v4, 0
	s_waitcnt lgkmcnt(0)
	v_add_f16_sdwa v7, v6, v6 dst_sel:DWORD dst_unused:UNUSED_PAD src0_sel:WORD_1 src1_sel:DWORD
	v_sub_f16_sdwa v10, v6, v6 dst_sel:DWORD dst_unused:UNUSED_PAD src0_sel:DWORD src1_sel:WORD_1
	v_mov_b32_e32 v5, 0
	ds_read_u16 v1, v9 offset:1962
	v_mov_b32_e32 v11, 0
	s_waitcnt lgkmcnt(0)
	v_xor_b32_e32 v1, 0x8000, v1
	ds_write_b16 v12, v7
	ds_write_b16 v9, v1 offset:1962
.LBB0_25:
	s_or_b32 exec_lo, exec_lo, s0
	v_lshlrev_b64 v[4:5], 2, v[4:5]
	v_perm_b32 v10, v11, v10, 0x5040100
	ds_write_b16 v12, v9 offset:2
	ds_read_b32 v9, v8 offset:3136
	ds_write_b32 v8, v10 offset:3920
	ds_read_b32 v10, v12 offset:784
	s_waitcnt lgkmcnt(4)
	v_add_co_u32 v6, s0, s1, v4
	v_add_co_ci_u32_e64 v7, s0, s4, v5, s0
	s_mov_b32 s1, exec_lo
	global_load_dword v1, v[6:7], off offset:784
	s_waitcnt lgkmcnt(0)
	v_pk_add_f16 v11, v10, v9 neg_lo:[0,1] neg_hi:[0,1]
	v_pk_add_f16 v9, v10, v9
	v_bfi_b32 v10, 0xffff, v11, v9
	v_bfi_b32 v9, 0xffff, v9, v11
	v_pk_mul_f16 v10, v10, 0.5 op_sel_hi:[1,0]
	v_pk_mul_f16 v9, v9, 0.5 op_sel_hi:[1,0]
	s_waitcnt vmcnt(0)
	v_pk_fma_f16 v11, v1, v10, v9 op_sel:[1,0,0]
	v_pk_mul_f16 v13, v1, v10 op_sel_hi:[0,1]
	v_pk_fma_f16 v14, v1, v10, v9 op_sel:[1,0,0] neg_lo:[1,0,0] neg_hi:[1,0,0]
	v_pk_fma_f16 v1, v1, v10, v9 op_sel:[1,0,0] neg_lo:[0,0,1] neg_hi:[0,0,1]
	v_pk_add_f16 v9, v11, v13 op_sel:[0,1] op_sel_hi:[1,0]
	v_pk_add_f16 v10, v11, v13 op_sel:[0,1] op_sel_hi:[1,0] neg_lo:[0,1] neg_hi:[0,1]
	v_pk_add_f16 v11, v14, v13 op_sel:[0,1] op_sel_hi:[1,0] neg_lo:[0,1] neg_hi:[0,1]
	;; [unrolled: 1-line block ×3, first 2 shown]
	v_bfi_b32 v9, 0xffff, v9, v10
	v_bfi_b32 v1, 0xffff, v11, v1
	ds_write_b32 v12, v9 offset:784
	ds_write_b32 v8, v1 offset:3136
	v_cmpx_gt_u32_e32 0x62, v0
	s_cbranch_execz .LBB0_27
; %bb.26:
	global_load_dword v1, v[6:7], off offset:1568
	ds_read_b32 v6, v12 offset:1568
	ds_read_b32 v7, v8 offset:2352
	s_waitcnt lgkmcnt(0)
	v_pk_add_f16 v9, v6, v7 neg_lo:[0,1] neg_hi:[0,1]
	v_pk_add_f16 v6, v6, v7
	v_bfi_b32 v7, 0xffff, v9, v6
	v_bfi_b32 v6, 0xffff, v6, v9
	v_pk_mul_f16 v7, v7, 0.5 op_sel_hi:[1,0]
	v_pk_mul_f16 v6, v6, 0.5 op_sel_hi:[1,0]
	s_waitcnt vmcnt(0)
	v_pk_fma_f16 v9, v1, v7, v6 op_sel:[1,0,0]
	v_pk_mul_f16 v10, v1, v7 op_sel_hi:[0,1]
	v_pk_fma_f16 v11, v1, v7, v6 op_sel:[1,0,0] neg_lo:[1,0,0] neg_hi:[1,0,0]
	v_pk_fma_f16 v1, v1, v7, v6 op_sel:[1,0,0] neg_lo:[0,0,1] neg_hi:[0,0,1]
	v_pk_add_f16 v6, v9, v10 op_sel:[0,1] op_sel_hi:[1,0]
	v_pk_add_f16 v7, v9, v10 op_sel:[0,1] op_sel_hi:[1,0] neg_lo:[0,1] neg_hi:[0,1]
	v_pk_add_f16 v9, v11, v10 op_sel:[0,1] op_sel_hi:[1,0] neg_lo:[0,1] neg_hi:[0,1]
	;; [unrolled: 1-line block ×3, first 2 shown]
	v_bfi_b32 v6, 0xffff, v6, v7
	v_bfi_b32 v1, 0xffff, v9, v1
	ds_write_b32 v12, v6 offset:1568
	ds_write_b32 v8, v1 offset:2352
.LBB0_27:
	s_or_b32 exec_lo, exec_lo, s1
	s_waitcnt lgkmcnt(0)
	s_barrier
	buffer_gl0_inv
	s_and_saveexec_b32 s0, vcc_lo
	s_cbranch_execz .LBB0_30
; %bb.28:
	v_add_nc_u32_e32 v1, 0x600, v12
	ds_read2_b32 v[6:7], v12 offset1:196
	ds_read2_b32 v[8:9], v1 offset0:8 offset1:204
	ds_read_b32 v12, v12 offset:3136
	v_add_co_u32 v1, vcc_lo, s2, v2
	v_add_co_ci_u32_e32 v2, vcc_lo, s3, v3, vcc_lo
	v_add_co_u32 v3, vcc_lo, v1, v4
	v_add_co_ci_u32_e32 v4, vcc_lo, v2, v5, vcc_lo
	;; [unrolled: 2-line block ×3, first 2 shown]
	v_cmp_eq_u32_e32 vcc_lo, 0xc3, v0
	s_waitcnt lgkmcnt(2)
	global_store_dword v[3:4], v6, off
	global_store_dword v[3:4], v7, off offset:784
	s_waitcnt lgkmcnt(1)
	global_store_dword v[3:4], v8, off offset:1568
	global_store_dword v[10:11], v9, off offset:304
	s_waitcnt lgkmcnt(0)
	global_store_dword v[10:11], v12, off offset:1088
	s_and_b32 exec_lo, exec_lo, vcc_lo
	s_cbranch_execz .LBB0_30
; %bb.29:
	v_mov_b32_e32 v0, 0
	ds_read_b32 v3, v0 offset:3920
	v_add_co_u32 v0, vcc_lo, 0x800, v1
	v_add_co_ci_u32_e32 v1, vcc_lo, 0, v2, vcc_lo
	s_waitcnt lgkmcnt(0)
	global_store_dword v[0:1], v3, off offset:1872
.LBB0_30:
	s_endpgm
	.section	.rodata,"a",@progbits
	.p2align	6, 0x0
	.amdhsa_kernel fft_rtc_fwd_len980_factors_7_5_7_4_wgs_196_tpt_196_half_ip_CI_unitstride_sbrr_R2C_dirReg
		.amdhsa_group_segment_fixed_size 0
		.amdhsa_private_segment_fixed_size 0
		.amdhsa_kernarg_size 88
		.amdhsa_user_sgpr_count 6
		.amdhsa_user_sgpr_private_segment_buffer 1
		.amdhsa_user_sgpr_dispatch_ptr 0
		.amdhsa_user_sgpr_queue_ptr 0
		.amdhsa_user_sgpr_kernarg_segment_ptr 1
		.amdhsa_user_sgpr_dispatch_id 0
		.amdhsa_user_sgpr_flat_scratch_init 0
		.amdhsa_user_sgpr_private_segment_size 0
		.amdhsa_wavefront_size32 1
		.amdhsa_uses_dynamic_stack 0
		.amdhsa_system_sgpr_private_segment_wavefront_offset 0
		.amdhsa_system_sgpr_workgroup_id_x 1
		.amdhsa_system_sgpr_workgroup_id_y 0
		.amdhsa_system_sgpr_workgroup_id_z 0
		.amdhsa_system_sgpr_workgroup_info 0
		.amdhsa_system_vgpr_workitem_id 0
		.amdhsa_next_free_vgpr 38
		.amdhsa_next_free_sgpr 21
		.amdhsa_reserve_vcc 1
		.amdhsa_reserve_flat_scratch 0
		.amdhsa_float_round_mode_32 0
		.amdhsa_float_round_mode_16_64 0
		.amdhsa_float_denorm_mode_32 3
		.amdhsa_float_denorm_mode_16_64 3
		.amdhsa_dx10_clamp 1
		.amdhsa_ieee_mode 1
		.amdhsa_fp16_overflow 0
		.amdhsa_workgroup_processor_mode 1
		.amdhsa_memory_ordered 1
		.amdhsa_forward_progress 0
		.amdhsa_shared_vgpr_count 0
		.amdhsa_exception_fp_ieee_invalid_op 0
		.amdhsa_exception_fp_denorm_src 0
		.amdhsa_exception_fp_ieee_div_zero 0
		.amdhsa_exception_fp_ieee_overflow 0
		.amdhsa_exception_fp_ieee_underflow 0
		.amdhsa_exception_fp_ieee_inexact 0
		.amdhsa_exception_int_div_zero 0
	.end_amdhsa_kernel
	.text
.Lfunc_end0:
	.size	fft_rtc_fwd_len980_factors_7_5_7_4_wgs_196_tpt_196_half_ip_CI_unitstride_sbrr_R2C_dirReg, .Lfunc_end0-fft_rtc_fwd_len980_factors_7_5_7_4_wgs_196_tpt_196_half_ip_CI_unitstride_sbrr_R2C_dirReg
                                        ; -- End function
	.section	.AMDGPU.csdata,"",@progbits
; Kernel info:
; codeLenInByte = 5352
; NumSgprs: 23
; NumVgprs: 38
; ScratchSize: 0
; MemoryBound: 0
; FloatMode: 240
; IeeeMode: 1
; LDSByteSize: 0 bytes/workgroup (compile time only)
; SGPRBlocks: 2
; VGPRBlocks: 4
; NumSGPRsForWavesPerEU: 23
; NumVGPRsForWavesPerEU: 38
; Occupancy: 16
; WaveLimiterHint : 1
; COMPUTE_PGM_RSRC2:SCRATCH_EN: 0
; COMPUTE_PGM_RSRC2:USER_SGPR: 6
; COMPUTE_PGM_RSRC2:TRAP_HANDLER: 0
; COMPUTE_PGM_RSRC2:TGID_X_EN: 1
; COMPUTE_PGM_RSRC2:TGID_Y_EN: 0
; COMPUTE_PGM_RSRC2:TGID_Z_EN: 0
; COMPUTE_PGM_RSRC2:TIDIG_COMP_CNT: 0
	.text
	.p2alignl 6, 3214868480
	.fill 48, 4, 3214868480
	.type	__hip_cuid_32ac1288642d3a50,@object ; @__hip_cuid_32ac1288642d3a50
	.section	.bss,"aw",@nobits
	.globl	__hip_cuid_32ac1288642d3a50
__hip_cuid_32ac1288642d3a50:
	.byte	0                               ; 0x0
	.size	__hip_cuid_32ac1288642d3a50, 1

	.ident	"AMD clang version 19.0.0git (https://github.com/RadeonOpenCompute/llvm-project roc-6.4.0 25133 c7fe45cf4b819c5991fe208aaa96edf142730f1d)"
	.section	".note.GNU-stack","",@progbits
	.addrsig
	.addrsig_sym __hip_cuid_32ac1288642d3a50
	.amdgpu_metadata
---
amdhsa.kernels:
  - .args:
      - .actual_access:  read_only
        .address_space:  global
        .offset:         0
        .size:           8
        .value_kind:     global_buffer
      - .offset:         8
        .size:           8
        .value_kind:     by_value
      - .actual_access:  read_only
        .address_space:  global
        .offset:         16
        .size:           8
        .value_kind:     global_buffer
      - .actual_access:  read_only
        .address_space:  global
        .offset:         24
        .size:           8
        .value_kind:     global_buffer
      - .offset:         32
        .size:           8
        .value_kind:     by_value
      - .actual_access:  read_only
        .address_space:  global
        .offset:         40
        .size:           8
        .value_kind:     global_buffer
      - .actual_access:  read_only
        .address_space:  global
        .offset:         48
        .size:           8
        .value_kind:     global_buffer
      - .offset:         56
        .size:           4
        .value_kind:     by_value
      - .actual_access:  read_only
        .address_space:  global
        .offset:         64
        .size:           8
        .value_kind:     global_buffer
      - .actual_access:  read_only
        .address_space:  global
        .offset:         72
        .size:           8
        .value_kind:     global_buffer
      - .address_space:  global
        .offset:         80
        .size:           8
        .value_kind:     global_buffer
    .group_segment_fixed_size: 0
    .kernarg_segment_align: 8
    .kernarg_segment_size: 88
    .language:       OpenCL C
    .language_version:
      - 2
      - 0
    .max_flat_workgroup_size: 196
    .name:           fft_rtc_fwd_len980_factors_7_5_7_4_wgs_196_tpt_196_half_ip_CI_unitstride_sbrr_R2C_dirReg
    .private_segment_fixed_size: 0
    .sgpr_count:     23
    .sgpr_spill_count: 0
    .symbol:         fft_rtc_fwd_len980_factors_7_5_7_4_wgs_196_tpt_196_half_ip_CI_unitstride_sbrr_R2C_dirReg.kd
    .uniform_work_group_size: 1
    .uses_dynamic_stack: false
    .vgpr_count:     38
    .vgpr_spill_count: 0
    .wavefront_size: 32
    .workgroup_processor_mode: 1
amdhsa.target:   amdgcn-amd-amdhsa--gfx1030
amdhsa.version:
  - 1
  - 2
...

	.end_amdgpu_metadata
